;; amdgpu-corpus repo=ROCm/hip-tests kind=compiled arch=gfx906 opt=O3
	.amdgcn_target "amdgcn-amd-amdhsa--gfx906"
	.amdhsa_code_object_version 6
	.text
	.protected	_Z24MakeHipComplexTypeKernelP15HIP_vector_typeIfLj2EEff ; -- Begin function _Z24MakeHipComplexTypeKernelP15HIP_vector_typeIfLj2EEff
	.globl	_Z24MakeHipComplexTypeKernelP15HIP_vector_typeIfLj2EEff
	.p2align	8
	.type	_Z24MakeHipComplexTypeKernelP15HIP_vector_typeIfLj2EEff,@function
_Z24MakeHipComplexTypeKernelP15HIP_vector_typeIfLj2EEff: ; @_Z24MakeHipComplexTypeKernelP15HIP_vector_typeIfLj2EEff
; %bb.0:
	s_load_dwordx4 s[0:3], s[4:5], 0x0
	v_mov_b32_e32 v2, 0
	s_waitcnt lgkmcnt(0)
	v_mov_b32_e32 v0, s2
	v_mov_b32_e32 v1, s3
	global_store_dwordx2 v2, v[0:1], s[0:1]
	s_endpgm
	.section	.rodata,"a",@progbits
	.p2align	6, 0x0
	.amdhsa_kernel _Z24MakeHipComplexTypeKernelP15HIP_vector_typeIfLj2EEff
		.amdhsa_group_segment_fixed_size 0
		.amdhsa_private_segment_fixed_size 0
		.amdhsa_kernarg_size 16
		.amdhsa_user_sgpr_count 6
		.amdhsa_user_sgpr_private_segment_buffer 1
		.amdhsa_user_sgpr_dispatch_ptr 0
		.amdhsa_user_sgpr_queue_ptr 0
		.amdhsa_user_sgpr_kernarg_segment_ptr 1
		.amdhsa_user_sgpr_dispatch_id 0
		.amdhsa_user_sgpr_flat_scratch_init 0
		.amdhsa_user_sgpr_private_segment_size 0
		.amdhsa_uses_dynamic_stack 0
		.amdhsa_system_sgpr_private_segment_wavefront_offset 0
		.amdhsa_system_sgpr_workgroup_id_x 1
		.amdhsa_system_sgpr_workgroup_id_y 0
		.amdhsa_system_sgpr_workgroup_id_z 0
		.amdhsa_system_sgpr_workgroup_info 0
		.amdhsa_system_vgpr_workitem_id 0
		.amdhsa_next_free_vgpr 3
		.amdhsa_next_free_sgpr 6
		.amdhsa_reserve_vcc 0
		.amdhsa_reserve_flat_scratch 0
		.amdhsa_float_round_mode_32 0
		.amdhsa_float_round_mode_16_64 0
		.amdhsa_float_denorm_mode_32 3
		.amdhsa_float_denorm_mode_16_64 3
		.amdhsa_dx10_clamp 1
		.amdhsa_ieee_mode 1
		.amdhsa_fp16_overflow 0
		.amdhsa_exception_fp_ieee_invalid_op 0
		.amdhsa_exception_fp_denorm_src 0
		.amdhsa_exception_fp_ieee_div_zero 0
		.amdhsa_exception_fp_ieee_overflow 0
		.amdhsa_exception_fp_ieee_underflow 0
		.amdhsa_exception_fp_ieee_inexact 0
		.amdhsa_exception_int_div_zero 0
	.end_amdhsa_kernel
	.text
.Lfunc_end0:
	.size	_Z24MakeHipComplexTypeKernelP15HIP_vector_typeIfLj2EEff, .Lfunc_end0-_Z24MakeHipComplexTypeKernelP15HIP_vector_typeIfLj2EEff
                                        ; -- End function
	.set _Z24MakeHipComplexTypeKernelP15HIP_vector_typeIfLj2EEff.num_vgpr, 3
	.set _Z24MakeHipComplexTypeKernelP15HIP_vector_typeIfLj2EEff.num_agpr, 0
	.set _Z24MakeHipComplexTypeKernelP15HIP_vector_typeIfLj2EEff.numbered_sgpr, 6
	.set _Z24MakeHipComplexTypeKernelP15HIP_vector_typeIfLj2EEff.num_named_barrier, 0
	.set _Z24MakeHipComplexTypeKernelP15HIP_vector_typeIfLj2EEff.private_seg_size, 0
	.set _Z24MakeHipComplexTypeKernelP15HIP_vector_typeIfLj2EEff.uses_vcc, 0
	.set _Z24MakeHipComplexTypeKernelP15HIP_vector_typeIfLj2EEff.uses_flat_scratch, 0
	.set _Z24MakeHipComplexTypeKernelP15HIP_vector_typeIfLj2EEff.has_dyn_sized_stack, 0
	.set _Z24MakeHipComplexTypeKernelP15HIP_vector_typeIfLj2EEff.has_recursion, 0
	.set _Z24MakeHipComplexTypeKernelP15HIP_vector_typeIfLj2EEff.has_indirect_call, 0
	.section	.AMDGPU.csdata,"",@progbits
; Kernel info:
; codeLenInByte = 36
; TotalNumSgprs: 10
; NumVgprs: 3
; ScratchSize: 0
; MemoryBound: 0
; FloatMode: 240
; IeeeMode: 1
; LDSByteSize: 0 bytes/workgroup (compile time only)
; SGPRBlocks: 1
; VGPRBlocks: 0
; NumSGPRsForWavesPerEU: 10
; NumVGPRsForWavesPerEU: 3
; Occupancy: 10
; WaveLimiterHint : 0
; COMPUTE_PGM_RSRC2:SCRATCH_EN: 0
; COMPUTE_PGM_RSRC2:USER_SGPR: 6
; COMPUTE_PGM_RSRC2:TRAP_HANDLER: 0
; COMPUTE_PGM_RSRC2:TGID_X_EN: 1
; COMPUTE_PGM_RSRC2:TGID_Y_EN: 0
; COMPUTE_PGM_RSRC2:TGID_Z_EN: 0
; COMPUTE_PGM_RSRC2:TIDIG_COMP_CNT: 0
	.section	.text._Z19ComplexResultKernelI15HIP_vector_typeIfLj2EEEv15ComplexFunctionPT_S3_S3_S3_,"axG",@progbits,_Z19ComplexResultKernelI15HIP_vector_typeIfLj2EEEv15ComplexFunctionPT_S3_S3_S3_,comdat
	.protected	_Z19ComplexResultKernelI15HIP_vector_typeIfLj2EEEv15ComplexFunctionPT_S3_S3_S3_ ; -- Begin function _Z19ComplexResultKernelI15HIP_vector_typeIfLj2EEEv15ComplexFunctionPT_S3_S3_S3_
	.globl	_Z19ComplexResultKernelI15HIP_vector_typeIfLj2EEEv15ComplexFunctionPT_S3_S3_S3_
	.p2align	8
	.type	_Z19ComplexResultKernelI15HIP_vector_typeIfLj2EEEv15ComplexFunctionPT_S3_S3_S3_,@function
_Z19ComplexResultKernelI15HIP_vector_typeIfLj2EEEv15ComplexFunctionPT_S3_S3_S3_: ; @_Z19ComplexResultKernelI15HIP_vector_typeIfLj2EEEv15ComplexFunctionPT_S3_S3_S3_
; %bb.0:
	s_load_dword s14, s[4:5], 0x0
	s_load_dwordx2 s[2:3], s[4:5], 0x8
	s_load_dwordx4 s[8:11], s[4:5], 0x10
	s_mov_b64 s[12:13], -1
	s_mov_b64 s[6:7], 0
	s_waitcnt lgkmcnt(0)
	s_cmp_lt_i32 s14, 5
	s_mov_b64 s[0:1], 0
	s_cbranch_scc1 .LBB1_14
; %bb.1:
	s_cmp_gt_i32 s14, 5
	s_cbranch_scc0 .LBB1_6
; %bb.2:
	s_cmp_gt_i32 s14, 8
	s_cbranch_scc0 .LBB1_7
; %bb.3:
	s_cmp_eq_u32 s14, 9
	s_mov_b64 s[0:1], -1
	s_cbranch_scc0 .LBB1_5
; %bb.4:
	s_load_dwordx2 s[0:1], s[4:5], 0x20
	v_mov_b32_e32 v0, s10
	v_mov_b32_e32 v2, s11
	s_waitcnt lgkmcnt(0)
	v_mov_b32_e32 v3, s0
	v_mov_b32_e32 v1, s1
	v_fma_f32 v3, s8, v0, v3
	v_fmac_f32_e32 v1, s9, v0
	v_fma_f32 v0, -s9, v2, v3
	v_fmac_f32_e32 v1, s8, v2
	v_mov_b32_e32 v2, 0
	global_store_dwordx2 v2, v[0:1], s[2:3]
	s_mov_b64 s[0:1], 0
.LBB1_5:
	s_branch .LBB1_10
.LBB1_6:
	s_mov_b64 s[4:5], -1
	s_branch .LBB1_11
.LBB1_7:
	s_cbranch_execz .LBB1_10
; %bb.8:
	s_cmp_eq_u32 s14, 6
	s_mov_b64 s[0:1], -1
	s_cbranch_scc0 .LBB1_10
; %bb.9:
	v_mov_b32_e32 v0, s11
	v_mul_f32_e64 v1, s11, s11
	v_mul_f32_e32 v2, s9, v0
	v_mov_b32_e32 v3, s10
	v_fmac_f32_e64 v1, s10, s10
	v_fmac_f32_e32 v2, s8, v3
	v_mul_f32_e32 v0, s8, v0
	v_div_scale_f32 v4, s[0:1], v1, v1, v2
	v_fma_f32 v3, s9, v3, -v0
	v_div_scale_f32 v0, s[0:1], v1, v1, v3
	v_div_scale_f32 v5, vcc, v2, v1, v2
	v_div_scale_f32 v6, s[0:1], v3, v1, v3
	s_mov_b64 s[4:5], 0
	v_rcp_f32_e32 v7, v4
	v_rcp_f32_e32 v8, v0
	v_fma_f32 v9, -v4, v7, 1.0
	v_fmac_f32_e32 v7, v9, v7
	v_mul_f32_e32 v9, v5, v7
	v_fma_f32 v10, -v0, v8, 1.0
	v_fmac_f32_e32 v8, v10, v8
	v_mul_f32_e32 v10, v6, v8
	v_fma_f32 v11, -v4, v9, v5
	v_fma_f32 v12, -v0, v10, v6
	v_fmac_f32_e32 v9, v11, v7
	v_fma_f32 v4, -v4, v9, v5
	v_fmac_f32_e32 v10, v12, v8
	v_div_fmas_f32 v4, v4, v7, v9
	v_fma_f32 v0, -v0, v10, v6
	s_mov_b64 vcc, s[0:1]
	v_div_fmas_f32 v5, v0, v8, v10
	v_mov_b32_e32 v6, 0
	s_mov_b64 s[0:1], 0
	v_div_fixup_f32 v0, v4, v1, v2
	v_div_fixup_f32 v1, v5, v1, v3
	global_store_dwordx2 v6, v[0:1], s[2:3]
	s_branch .LBB1_11
.LBB1_10:
	s_mov_b64 s[4:5], 0
.LBB1_11:
	s_and_b64 vcc, exec, s[4:5]
	s_cbranch_vccz .LBB1_13
; %bb.12:
	v_mov_b32_e32 v1, s11
	v_mul_f32_e32 v0, s9, v1
	v_mov_b32_e32 v2, s10
	v_mul_f32_e32 v1, s8, v1
	v_fma_f32 v0, s8, v2, -v0
	v_fmac_f32_e32 v1, s9, v2
	v_mov_b32_e32 v2, 0
	global_store_dwordx2 v2, v[0:1], s[2:3]
.LBB1_13:
	s_mov_b64 s[12:13], 0
.LBB1_14:
	s_and_b64 vcc, exec, s[12:13]
	s_cbranch_vccz .LBB1_23
; %bb.15:
	s_cmp_gt_i32 s14, 2
	s_mov_b64 s[4:5], -1
	s_cbranch_scc0 .LBB1_21
; %bb.16:
	s_cmp_gt_i32 s14, 3
	s_cbranch_scc0 .LBB1_18
; %bb.17:
	v_mov_b32_e32 v0, s10
	v_mov_b32_e32 v1, s11
	v_sub_f32_e32 v0, s8, v0
	v_sub_f32_e32 v1, s9, v1
	v_mov_b32_e32 v2, 0
	global_store_dwordx2 v2, v[0:1], s[2:3]
	s_mov_b64 s[4:5], 0
.LBB1_18:
	s_andn2_b64 vcc, exec, s[4:5]
	s_cbranch_vccnz .LBB1_20
; %bb.19:
	v_mov_b32_e32 v0, s10
	v_mov_b32_e32 v1, s11
	v_add_f32_e32 v0, s8, v0
	v_add_f32_e32 v1, s9, v1
	v_mov_b32_e32 v2, 0
	global_store_dwordx2 v2, v[0:1], s[2:3]
.LBB1_20:
	s_mov_b64 s[4:5], 0
.LBB1_21:
	s_andn2_b64 vcc, exec, s[4:5]
	s_cbranch_vccnz .LBB1_23
; %bb.22:
	s_cmp_lg_u32 s14, 2
	s_mov_b64 s[6:7], -1
	s_cselect_b64 s[0:1], -1, 0
.LBB1_23:
	s_and_b64 vcc, exec, s[0:1]
	s_cbranch_vccnz .LBB1_26
; %bb.24:
	s_andn2_b64 vcc, exec, s[6:7]
	s_cbranch_vccz .LBB1_27
.LBB1_25:
	s_endpgm
.LBB1_26:
	v_mov_b32_e32 v0, s8
	v_mov_b32_e32 v1, s9
	v_mov_b32_e32 v2, 0
	global_store_dwordx2 v2, v[0:1], s[2:3]
	s_cbranch_execnz .LBB1_25
.LBB1_27:
	s_xor_b32 s0, s9, 0x80000000
	v_mov_b32_e32 v0, s8
	v_mov_b32_e32 v1, s0
	;; [unrolled: 1-line block ×3, first 2 shown]
	global_store_dwordx2 v2, v[0:1], s[2:3]
	s_endpgm
	.section	.rodata,"a",@progbits
	.p2align	6, 0x0
	.amdhsa_kernel _Z19ComplexResultKernelI15HIP_vector_typeIfLj2EEEv15ComplexFunctionPT_S3_S3_S3_
		.amdhsa_group_segment_fixed_size 0
		.amdhsa_private_segment_fixed_size 0
		.amdhsa_kernarg_size 40
		.amdhsa_user_sgpr_count 6
		.amdhsa_user_sgpr_private_segment_buffer 1
		.amdhsa_user_sgpr_dispatch_ptr 0
		.amdhsa_user_sgpr_queue_ptr 0
		.amdhsa_user_sgpr_kernarg_segment_ptr 1
		.amdhsa_user_sgpr_dispatch_id 0
		.amdhsa_user_sgpr_flat_scratch_init 0
		.amdhsa_user_sgpr_private_segment_size 0
		.amdhsa_uses_dynamic_stack 0
		.amdhsa_system_sgpr_private_segment_wavefront_offset 0
		.amdhsa_system_sgpr_workgroup_id_x 1
		.amdhsa_system_sgpr_workgroup_id_y 0
		.amdhsa_system_sgpr_workgroup_id_z 0
		.amdhsa_system_sgpr_workgroup_info 0
		.amdhsa_system_vgpr_workitem_id 0
		.amdhsa_next_free_vgpr 13
		.amdhsa_next_free_sgpr 15
		.amdhsa_reserve_vcc 1
		.amdhsa_reserve_flat_scratch 0
		.amdhsa_float_round_mode_32 0
		.amdhsa_float_round_mode_16_64 0
		.amdhsa_float_denorm_mode_32 3
		.amdhsa_float_denorm_mode_16_64 3
		.amdhsa_dx10_clamp 1
		.amdhsa_ieee_mode 1
		.amdhsa_fp16_overflow 0
		.amdhsa_exception_fp_ieee_invalid_op 0
		.amdhsa_exception_fp_denorm_src 0
		.amdhsa_exception_fp_ieee_div_zero 0
		.amdhsa_exception_fp_ieee_overflow 0
		.amdhsa_exception_fp_ieee_underflow 0
		.amdhsa_exception_fp_ieee_inexact 0
		.amdhsa_exception_int_div_zero 0
	.end_amdhsa_kernel
	.section	.text._Z19ComplexResultKernelI15HIP_vector_typeIfLj2EEEv15ComplexFunctionPT_S3_S3_S3_,"axG",@progbits,_Z19ComplexResultKernelI15HIP_vector_typeIfLj2EEEv15ComplexFunctionPT_S3_S3_S3_,comdat
.Lfunc_end1:
	.size	_Z19ComplexResultKernelI15HIP_vector_typeIfLj2EEEv15ComplexFunctionPT_S3_S3_S3_, .Lfunc_end1-_Z19ComplexResultKernelI15HIP_vector_typeIfLj2EEEv15ComplexFunctionPT_S3_S3_S3_
                                        ; -- End function
	.set _Z19ComplexResultKernelI15HIP_vector_typeIfLj2EEEv15ComplexFunctionPT_S3_S3_S3_.num_vgpr, 13
	.set _Z19ComplexResultKernelI15HIP_vector_typeIfLj2EEEv15ComplexFunctionPT_S3_S3_S3_.num_agpr, 0
	.set _Z19ComplexResultKernelI15HIP_vector_typeIfLj2EEEv15ComplexFunctionPT_S3_S3_S3_.numbered_sgpr, 15
	.set _Z19ComplexResultKernelI15HIP_vector_typeIfLj2EEEv15ComplexFunctionPT_S3_S3_S3_.num_named_barrier, 0
	.set _Z19ComplexResultKernelI15HIP_vector_typeIfLj2EEEv15ComplexFunctionPT_S3_S3_S3_.private_seg_size, 0
	.set _Z19ComplexResultKernelI15HIP_vector_typeIfLj2EEEv15ComplexFunctionPT_S3_S3_S3_.uses_vcc, 1
	.set _Z19ComplexResultKernelI15HIP_vector_typeIfLj2EEEv15ComplexFunctionPT_S3_S3_S3_.uses_flat_scratch, 0
	.set _Z19ComplexResultKernelI15HIP_vector_typeIfLj2EEEv15ComplexFunctionPT_S3_S3_S3_.has_dyn_sized_stack, 0
	.set _Z19ComplexResultKernelI15HIP_vector_typeIfLj2EEEv15ComplexFunctionPT_S3_S3_S3_.has_recursion, 0
	.set _Z19ComplexResultKernelI15HIP_vector_typeIfLj2EEEv15ComplexFunctionPT_S3_S3_S3_.has_indirect_call, 0
	.section	.AMDGPU.csdata,"",@progbits
; Kernel info:
; codeLenInByte = 640
; TotalNumSgprs: 19
; NumVgprs: 13
; ScratchSize: 0
; MemoryBound: 0
; FloatMode: 240
; IeeeMode: 1
; LDSByteSize: 0 bytes/workgroup (compile time only)
; SGPRBlocks: 2
; VGPRBlocks: 3
; NumSGPRsForWavesPerEU: 19
; NumVGPRsForWavesPerEU: 13
; Occupancy: 10
; WaveLimiterHint : 0
; COMPUTE_PGM_RSRC2:SCRATCH_EN: 0
; COMPUTE_PGM_RSRC2:USER_SGPR: 6
; COMPUTE_PGM_RSRC2:TRAP_HANDLER: 0
; COMPUTE_PGM_RSRC2:TGID_X_EN: 1
; COMPUTE_PGM_RSRC2:TGID_Y_EN: 0
; COMPUTE_PGM_RSRC2:TGID_Z_EN: 0
; COMPUTE_PGM_RSRC2:TIDIG_COMP_CNT: 0
	.section	.text._Z18ScalarResultKernelI15HIP_vector_typeIfLj2EEEv15ComplexFunctionPDtdtcvT__E1xES3_,"axG",@progbits,_Z18ScalarResultKernelI15HIP_vector_typeIfLj2EEEv15ComplexFunctionPDtdtcvT__E1xES3_,comdat
	.protected	_Z18ScalarResultKernelI15HIP_vector_typeIfLj2EEEv15ComplexFunctionPDtdtcvT__E1xES3_ ; -- Begin function _Z18ScalarResultKernelI15HIP_vector_typeIfLj2EEEv15ComplexFunctionPDtdtcvT__E1xES3_
	.globl	_Z18ScalarResultKernelI15HIP_vector_typeIfLj2EEEv15ComplexFunctionPDtdtcvT__E1xES3_
	.p2align	8
	.type	_Z18ScalarResultKernelI15HIP_vector_typeIfLj2EEEv15ComplexFunctionPDtdtcvT__E1xES3_,@function
_Z18ScalarResultKernelI15HIP_vector_typeIfLj2EEEv15ComplexFunctionPDtdtcvT__E1xES3_: ; @_Z18ScalarResultKernelI15HIP_vector_typeIfLj2EEEv15ComplexFunctionPDtdtcvT__E1xES3_
; %bb.0:
	s_load_dword s6, s[4:5], 0x0
	s_load_dwordx4 s[8:11], s[4:5], 0x8
	s_mov_b64 s[0:1], -1
	s_mov_b64 s[2:3], 0
	s_mov_b64 s[4:5], 0
	s_waitcnt lgkmcnt(0)
	s_cmp_lt_i32 s6, 7
	s_cbranch_scc1 .LBB2_8
; %bb.1:
	s_cmp_gt_i32 s6, 7
	s_cbranch_scc0 .LBB2_5
; %bb.2:
	s_cmp_eq_u32 s6, 8
	s_mov_b64 s[4:5], -1
	s_cbranch_scc0 .LBB2_4
; %bb.3:
	v_mul_f32_e64 v0, s11, s11
	v_fmac_f32_e64 v0, s10, s10
	v_mov_b32_e32 v1, 0
	global_store_dword v1, v0, s[8:9]
	s_mov_b64 s[4:5], 0
.LBB2_4:
	s_mov_b64 s[0:1], 0
.LBB2_5:
	s_and_b64 vcc, exec, s[0:1]
	s_cbranch_vccz .LBB2_7
; %bb.6:
	v_mul_f32_e64 v0, s11, s11
	v_fmac_f32_e64 v0, s10, s10
	s_mov_b32 s0, 0xf800000
	v_mul_f32_e32 v1, 0x4f800000, v0
	v_cmp_gt_f32_e32 vcc, s0, v0
	v_cndmask_b32_e32 v0, v0, v1, vcc
	v_sqrt_f32_e32 v1, v0
	v_add_u32_e32 v2, -1, v1
	v_fma_f32 v3, -v2, v1, v0
	v_cmp_ge_f32_e64 s[0:1], 0, v3
	v_add_u32_e32 v3, 1, v1
	v_cndmask_b32_e64 v2, v1, v2, s[0:1]
	v_fma_f32 v1, -v3, v1, v0
	v_cmp_lt_f32_e64 s[0:1], 0, v1
	v_cndmask_b32_e64 v1, v2, v3, s[0:1]
	v_mul_f32_e32 v2, 0x37800000, v1
	v_cndmask_b32_e32 v1, v1, v2, vcc
	v_mov_b32_e32 v2, 0x260
	v_cmp_class_f32_e32 vcc, v0, v2
	v_cndmask_b32_e32 v0, v1, v0, vcc
	v_mov_b32_e32 v1, 0
	global_store_dword v1, v0, s[8:9]
.LBB2_7:
	s_mov_b64 s[0:1], 0
.LBB2_8:
	s_and_b64 vcc, exec, s[0:1]
	s_cbranch_vccz .LBB2_15
; %bb.9:
	s_cmp_gt_i32 s6, 0
	s_mov_b64 s[0:1], -1
	s_cbranch_scc0 .LBB2_13
; %bb.10:
	s_cmp_eq_u32 s6, 1
	s_mov_b64 s[4:5], -1
	s_cbranch_scc0 .LBB2_12
; %bb.11:
	v_mov_b32_e32 v0, 0
	v_mov_b32_e32 v1, s11
	global_store_dword v0, v1, s[8:9]
	s_mov_b64 s[4:5], 0
.LBB2_12:
	s_mov_b64 s[0:1], 0
.LBB2_13:
	s_and_b64 vcc, exec, s[0:1]
	s_cbranch_vccz .LBB2_15
; %bb.14:
	s_cmp_lg_u32 s6, 0
	s_mov_b64 s[2:3], -1
	s_cselect_b64 s[4:5], -1, 0
.LBB2_15:
	s_and_b64 vcc, exec, s[4:5]
	s_cbranch_vccnz .LBB2_18
; %bb.16:
	s_andn2_b64 vcc, exec, s[2:3]
	s_cbranch_vccz .LBB2_19
.LBB2_17:
	s_endpgm
.LBB2_18:
	v_mov_b32_e32 v0, 0
	v_mov_b32_e32 v1, s10
	global_store_dword v0, v1, s[8:9]
	s_cbranch_execnz .LBB2_17
.LBB2_19:
	v_mov_b32_e32 v0, 0
	v_mov_b32_e32 v1, s10
	global_store_dword v0, v1, s[8:9]
	s_endpgm
	.section	.rodata,"a",@progbits
	.p2align	6, 0x0
	.amdhsa_kernel _Z18ScalarResultKernelI15HIP_vector_typeIfLj2EEEv15ComplexFunctionPDtdtcvT__E1xES3_
		.amdhsa_group_segment_fixed_size 0
		.amdhsa_private_segment_fixed_size 0
		.amdhsa_kernarg_size 24
		.amdhsa_user_sgpr_count 6
		.amdhsa_user_sgpr_private_segment_buffer 1
		.amdhsa_user_sgpr_dispatch_ptr 0
		.amdhsa_user_sgpr_queue_ptr 0
		.amdhsa_user_sgpr_kernarg_segment_ptr 1
		.amdhsa_user_sgpr_dispatch_id 0
		.amdhsa_user_sgpr_flat_scratch_init 0
		.amdhsa_user_sgpr_private_segment_size 0
		.amdhsa_uses_dynamic_stack 0
		.amdhsa_system_sgpr_private_segment_wavefront_offset 0
		.amdhsa_system_sgpr_workgroup_id_x 1
		.amdhsa_system_sgpr_workgroup_id_y 0
		.amdhsa_system_sgpr_workgroup_id_z 0
		.amdhsa_system_sgpr_workgroup_info 0
		.amdhsa_system_vgpr_workitem_id 0
		.amdhsa_next_free_vgpr 4
		.amdhsa_next_free_sgpr 12
		.amdhsa_reserve_vcc 1
		.amdhsa_reserve_flat_scratch 0
		.amdhsa_float_round_mode_32 0
		.amdhsa_float_round_mode_16_64 0
		.amdhsa_float_denorm_mode_32 3
		.amdhsa_float_denorm_mode_16_64 3
		.amdhsa_dx10_clamp 1
		.amdhsa_ieee_mode 1
		.amdhsa_fp16_overflow 0
		.amdhsa_exception_fp_ieee_invalid_op 0
		.amdhsa_exception_fp_denorm_src 0
		.amdhsa_exception_fp_ieee_div_zero 0
		.amdhsa_exception_fp_ieee_overflow 0
		.amdhsa_exception_fp_ieee_underflow 0
		.amdhsa_exception_fp_ieee_inexact 0
		.amdhsa_exception_int_div_zero 0
	.end_amdhsa_kernel
	.section	.text._Z18ScalarResultKernelI15HIP_vector_typeIfLj2EEEv15ComplexFunctionPDtdtcvT__E1xES3_,"axG",@progbits,_Z18ScalarResultKernelI15HIP_vector_typeIfLj2EEEv15ComplexFunctionPDtdtcvT__E1xES3_,comdat
.Lfunc_end2:
	.size	_Z18ScalarResultKernelI15HIP_vector_typeIfLj2EEEv15ComplexFunctionPDtdtcvT__E1xES3_, .Lfunc_end2-_Z18ScalarResultKernelI15HIP_vector_typeIfLj2EEEv15ComplexFunctionPDtdtcvT__E1xES3_
                                        ; -- End function
	.set _Z18ScalarResultKernelI15HIP_vector_typeIfLj2EEEv15ComplexFunctionPDtdtcvT__E1xES3_.num_vgpr, 4
	.set _Z18ScalarResultKernelI15HIP_vector_typeIfLj2EEEv15ComplexFunctionPDtdtcvT__E1xES3_.num_agpr, 0
	.set _Z18ScalarResultKernelI15HIP_vector_typeIfLj2EEEv15ComplexFunctionPDtdtcvT__E1xES3_.numbered_sgpr, 12
	.set _Z18ScalarResultKernelI15HIP_vector_typeIfLj2EEEv15ComplexFunctionPDtdtcvT__E1xES3_.num_named_barrier, 0
	.set _Z18ScalarResultKernelI15HIP_vector_typeIfLj2EEEv15ComplexFunctionPDtdtcvT__E1xES3_.private_seg_size, 0
	.set _Z18ScalarResultKernelI15HIP_vector_typeIfLj2EEEv15ComplexFunctionPDtdtcvT__E1xES3_.uses_vcc, 1
	.set _Z18ScalarResultKernelI15HIP_vector_typeIfLj2EEEv15ComplexFunctionPDtdtcvT__E1xES3_.uses_flat_scratch, 0
	.set _Z18ScalarResultKernelI15HIP_vector_typeIfLj2EEEv15ComplexFunctionPDtdtcvT__E1xES3_.has_dyn_sized_stack, 0
	.set _Z18ScalarResultKernelI15HIP_vector_typeIfLj2EEEv15ComplexFunctionPDtdtcvT__E1xES3_.has_recursion, 0
	.set _Z18ScalarResultKernelI15HIP_vector_typeIfLj2EEEv15ComplexFunctionPDtdtcvT__E1xES3_.has_indirect_call, 0
	.section	.AMDGPU.csdata,"",@progbits
; Kernel info:
; codeLenInByte = 384
; TotalNumSgprs: 16
; NumVgprs: 4
; ScratchSize: 0
; MemoryBound: 0
; FloatMode: 240
; IeeeMode: 1
; LDSByteSize: 0 bytes/workgroup (compile time only)
; SGPRBlocks: 1
; VGPRBlocks: 0
; NumSGPRsForWavesPerEU: 16
; NumVGPRsForWavesPerEU: 4
; Occupancy: 10
; WaveLimiterHint : 0
; COMPUTE_PGM_RSRC2:SCRATCH_EN: 0
; COMPUTE_PGM_RSRC2:USER_SGPR: 6
; COMPUTE_PGM_RSRC2:TRAP_HANDLER: 0
; COMPUTE_PGM_RSRC2:TGID_X_EN: 1
; COMPUTE_PGM_RSRC2:TGID_Y_EN: 0
; COMPUTE_PGM_RSRC2:TGID_Z_EN: 0
; COMPUTE_PGM_RSRC2:TIDIG_COMP_CNT: 0
	.section	.text._Z19ComplexResultKernelI15HIP_vector_typeIdLj2EEEv15ComplexFunctionPT_S3_S3_S3_,"axG",@progbits,_Z19ComplexResultKernelI15HIP_vector_typeIdLj2EEEv15ComplexFunctionPT_S3_S3_S3_,comdat
	.protected	_Z19ComplexResultKernelI15HIP_vector_typeIdLj2EEEv15ComplexFunctionPT_S3_S3_S3_ ; -- Begin function _Z19ComplexResultKernelI15HIP_vector_typeIdLj2EEEv15ComplexFunctionPT_S3_S3_S3_
	.globl	_Z19ComplexResultKernelI15HIP_vector_typeIdLj2EEEv15ComplexFunctionPT_S3_S3_S3_
	.p2align	8
	.type	_Z19ComplexResultKernelI15HIP_vector_typeIdLj2EEEv15ComplexFunctionPT_S3_S3_S3_,@function
_Z19ComplexResultKernelI15HIP_vector_typeIdLj2EEEv15ComplexFunctionPT_S3_S3_S3_: ; @_Z19ComplexResultKernelI15HIP_vector_typeIdLj2EEEv15ComplexFunctionPT_S3_S3_S3_
; %bb.0:
	s_load_dword s6, s[4:5], 0x0
	s_load_dwordx8 s[8:15], s[4:5], 0x8
	s_load_dwordx2 s[2:3], s[4:5], 0x28
	s_waitcnt lgkmcnt(0)
	s_cmp_lt_i32 s6, 5
	s_cbranch_scc1 .LBB3_5
; %bb.1:
	s_cmp_lt_i32 s6, 6
	s_cbranch_scc1 .LBB3_7
; %bb.2:
	;; [unrolled: 3-line block ×3, first 2 shown]
	s_cmp_eq_u32 s6, 9
	s_cbranch_scc0 .LBB3_9
; %bb.4:
	s_load_dwordx4 s[16:19], s[4:5], 0x30
	v_mov_b32_e32 v0, s14
	v_mov_b32_e32 v1, s15
	;; [unrolled: 1-line block ×4, first 2 shown]
	s_waitcnt lgkmcnt(0)
	v_mov_b32_e32 v2, s16
	v_mov_b32_e32 v3, s17
	;; [unrolled: 1-line block ×4, first 2 shown]
	v_fma_f64 v[2:3], s[10:11], v[0:1], v[2:3]
	v_fma_f64 v[4:5], s[12:13], v[0:1], v[4:5]
	v_fma_f64 v[0:1], -s[12:13], v[6:7], v[2:3]
	v_fma_f64 v[2:3], s[10:11], v[6:7], v[4:5]
	s_cbranch_execz .LBB3_10
	s_branch .LBB3_12
.LBB3_5:
                                        ; implicit-def: $vgpr2_vgpr3
	s_branch .LBB3_15
.LBB3_6:
	v_mov_b32_e32 v4, 0
	global_store_dwordx4 v4, v[0:3], s[8:9]
	s_endpgm
.LBB3_7:
                                        ; implicit-def: $vgpr2_vgpr3
	s_branch .LBB3_13
.LBB3_8:
                                        ; implicit-def: $vgpr2_vgpr3
	s_branch .LBB3_10
.LBB3_9:
	v_mov_b32_e32 v2, s12
	v_mov_b32_e32 v0, s10
	;; [unrolled: 1-line block ×4, first 2 shown]
	s_cbranch_execnz .LBB3_12
.LBB3_10:
	s_cmp_eq_u32 s6, 6
	s_cbranch_scc0 .LBB3_25
; %bb.11:
	v_mov_b32_e32 v2, s2
	v_mov_b32_e32 v3, s3
	v_mul_f64 v[0:1], s[2:3], s[2:3]
	v_mul_f64 v[4:5], s[12:13], v[2:3]
	v_mov_b32_e32 v6, s14
	v_mov_b32_e32 v7, s15
	v_mul_f64 v[2:3], s[10:11], v[2:3]
	v_fma_f64 v[8:9], s[14:15], s[14:15], v[0:1]
	v_fma_f64 v[0:1], s[10:11], v[6:7], v[4:5]
	v_fma_f64 v[2:3], s[12:13], v[6:7], -v[2:3]
	v_div_scale_f64 v[4:5], s[0:1], v[8:9], v[8:9], v[0:1]
	v_div_scale_f64 v[6:7], s[0:1], v[8:9], v[8:9], v[2:3]
	v_rcp_f64_e32 v[10:11], v[4:5]
	v_rcp_f64_e32 v[12:13], v[6:7]
	v_fma_f64 v[14:15], -v[4:5], v[10:11], 1.0
	v_fma_f64 v[16:17], -v[6:7], v[12:13], 1.0
	v_fma_f64 v[10:11], v[10:11], v[14:15], v[10:11]
	v_fma_f64 v[12:13], v[12:13], v[16:17], v[12:13]
	v_div_scale_f64 v[16:17], vcc, v[0:1], v[8:9], v[0:1]
	v_fma_f64 v[14:15], -v[4:5], v[10:11], 1.0
	v_fma_f64 v[18:19], -v[6:7], v[12:13], 1.0
	v_fma_f64 v[10:11], v[10:11], v[14:15], v[10:11]
	v_div_scale_f64 v[14:15], s[0:1], v[2:3], v[8:9], v[2:3]
	v_fma_f64 v[12:13], v[12:13], v[18:19], v[12:13]
	v_mul_f64 v[18:19], v[16:17], v[10:11]
	v_fma_f64 v[4:5], -v[4:5], v[18:19], v[16:17]
	v_mul_f64 v[16:17], v[14:15], v[12:13]
	v_div_fmas_f64 v[4:5], v[4:5], v[10:11], v[18:19]
	v_fma_f64 v[6:7], -v[6:7], v[16:17], v[14:15]
	s_mov_b64 vcc, s[0:1]
	v_div_fmas_f64 v[6:7], v[6:7], v[12:13], v[16:17]
	v_div_fixup_f64 v[0:1], v[4:5], v[8:9], v[0:1]
	v_div_fixup_f64 v[2:3], v[6:7], v[8:9], v[2:3]
.LBB3_12:
	s_cbranch_execnz .LBB3_14
.LBB3_13:
	v_mov_b32_e32 v0, s2
	v_mov_b32_e32 v1, s3
	v_mul_f64 v[2:3], s[12:13], v[0:1]
	v_mul_f64 v[4:5], s[10:11], v[0:1]
	v_mov_b32_e32 v6, s14
	v_mov_b32_e32 v7, s15
	v_fma_f64 v[0:1], s[10:11], v[6:7], -v[2:3]
	v_fma_f64 v[2:3], s[12:13], v[6:7], v[4:5]
.LBB3_14:
	s_cbranch_execnz .LBB3_6
.LBB3_15:
	s_cmp_lt_i32 s6, 3
	s_cbranch_scc1 .LBB3_18
; %bb.16:
	s_cmp_gt_i32 s6, 3
	s_cbranch_scc0 .LBB3_19
; %bb.17:
	v_mov_b32_e32 v0, s14
	v_mov_b32_e32 v2, s2
	;; [unrolled: 1-line block ×4, first 2 shown]
	v_add_f64 v[0:1], s[10:11], -v[0:1]
	v_add_f64 v[2:3], s[12:13], -v[2:3]
	s_cbranch_execz .LBB3_20
	s_branch .LBB3_21
.LBB3_18:
                                        ; implicit-def: $vgpr2_vgpr3
	s_branch .LBB3_22
.LBB3_19:
                                        ; implicit-def: $vgpr2_vgpr3
.LBB3_20:
	v_mov_b32_e32 v0, s14
	v_mov_b32_e32 v2, s2
	;; [unrolled: 1-line block ×4, first 2 shown]
	v_add_f64 v[0:1], s[10:11], v[0:1]
	v_add_f64 v[2:3], s[12:13], v[2:3]
.LBB3_21:
	s_cbranch_execnz .LBB3_6
.LBB3_22:
	s_cmp_eq_u32 s6, 2
	s_cbranch_scc0 .LBB3_24
; %bb.23:
	s_xor_b32 s13, s13, 0x80000000
.LBB3_24:
	v_mov_b32_e32 v2, s12
	v_mov_b32_e32 v0, s10
	;; [unrolled: 1-line block ×5, first 2 shown]
	global_store_dwordx4 v4, v[0:3], s[8:9]
	s_endpgm
.LBB3_25:
	v_mov_b32_e32 v2, s12
	v_mov_b32_e32 v0, s10
	;; [unrolled: 1-line block ×4, first 2 shown]
	s_cbranch_execz .LBB3_13
	s_branch .LBB3_14
	.section	.rodata,"a",@progbits
	.p2align	6, 0x0
	.amdhsa_kernel _Z19ComplexResultKernelI15HIP_vector_typeIdLj2EEEv15ComplexFunctionPT_S3_S3_S3_
		.amdhsa_group_segment_fixed_size 0
		.amdhsa_private_segment_fixed_size 0
		.amdhsa_kernarg_size 64
		.amdhsa_user_sgpr_count 6
		.amdhsa_user_sgpr_private_segment_buffer 1
		.amdhsa_user_sgpr_dispatch_ptr 0
		.amdhsa_user_sgpr_queue_ptr 0
		.amdhsa_user_sgpr_kernarg_segment_ptr 1
		.amdhsa_user_sgpr_dispatch_id 0
		.amdhsa_user_sgpr_flat_scratch_init 0
		.amdhsa_user_sgpr_private_segment_size 0
		.amdhsa_uses_dynamic_stack 0
		.amdhsa_system_sgpr_private_segment_wavefront_offset 0
		.amdhsa_system_sgpr_workgroup_id_x 1
		.amdhsa_system_sgpr_workgroup_id_y 0
		.amdhsa_system_sgpr_workgroup_id_z 0
		.amdhsa_system_sgpr_workgroup_info 0
		.amdhsa_system_vgpr_workitem_id 0
		.amdhsa_next_free_vgpr 20
		.amdhsa_next_free_sgpr 20
		.amdhsa_reserve_vcc 1
		.amdhsa_reserve_flat_scratch 0
		.amdhsa_float_round_mode_32 0
		.amdhsa_float_round_mode_16_64 0
		.amdhsa_float_denorm_mode_32 3
		.amdhsa_float_denorm_mode_16_64 3
		.amdhsa_dx10_clamp 1
		.amdhsa_ieee_mode 1
		.amdhsa_fp16_overflow 0
		.amdhsa_exception_fp_ieee_invalid_op 0
		.amdhsa_exception_fp_denorm_src 0
		.amdhsa_exception_fp_ieee_div_zero 0
		.amdhsa_exception_fp_ieee_overflow 0
		.amdhsa_exception_fp_ieee_underflow 0
		.amdhsa_exception_fp_ieee_inexact 0
		.amdhsa_exception_int_div_zero 0
	.end_amdhsa_kernel
	.section	.text._Z19ComplexResultKernelI15HIP_vector_typeIdLj2EEEv15ComplexFunctionPT_S3_S3_S3_,"axG",@progbits,_Z19ComplexResultKernelI15HIP_vector_typeIdLj2EEEv15ComplexFunctionPT_S3_S3_S3_,comdat
.Lfunc_end3:
	.size	_Z19ComplexResultKernelI15HIP_vector_typeIdLj2EEEv15ComplexFunctionPT_S3_S3_S3_, .Lfunc_end3-_Z19ComplexResultKernelI15HIP_vector_typeIdLj2EEEv15ComplexFunctionPT_S3_S3_S3_
                                        ; -- End function
	.set _Z19ComplexResultKernelI15HIP_vector_typeIdLj2EEEv15ComplexFunctionPT_S3_S3_S3_.num_vgpr, 20
	.set _Z19ComplexResultKernelI15HIP_vector_typeIdLj2EEEv15ComplexFunctionPT_S3_S3_S3_.num_agpr, 0
	.set _Z19ComplexResultKernelI15HIP_vector_typeIdLj2EEEv15ComplexFunctionPT_S3_S3_S3_.numbered_sgpr, 20
	.set _Z19ComplexResultKernelI15HIP_vector_typeIdLj2EEEv15ComplexFunctionPT_S3_S3_S3_.num_named_barrier, 0
	.set _Z19ComplexResultKernelI15HIP_vector_typeIdLj2EEEv15ComplexFunctionPT_S3_S3_S3_.private_seg_size, 0
	.set _Z19ComplexResultKernelI15HIP_vector_typeIdLj2EEEv15ComplexFunctionPT_S3_S3_S3_.uses_vcc, 1
	.set _Z19ComplexResultKernelI15HIP_vector_typeIdLj2EEEv15ComplexFunctionPT_S3_S3_S3_.uses_flat_scratch, 0
	.set _Z19ComplexResultKernelI15HIP_vector_typeIdLj2EEEv15ComplexFunctionPT_S3_S3_S3_.has_dyn_sized_stack, 0
	.set _Z19ComplexResultKernelI15HIP_vector_typeIdLj2EEEv15ComplexFunctionPT_S3_S3_S3_.has_recursion, 0
	.set _Z19ComplexResultKernelI15HIP_vector_typeIdLj2EEEv15ComplexFunctionPT_S3_S3_S3_.has_indirect_call, 0
	.section	.AMDGPU.csdata,"",@progbits
; Kernel info:
; codeLenInByte = 660
; TotalNumSgprs: 24
; NumVgprs: 20
; ScratchSize: 0
; MemoryBound: 0
; FloatMode: 240
; IeeeMode: 1
; LDSByteSize: 0 bytes/workgroup (compile time only)
; SGPRBlocks: 2
; VGPRBlocks: 4
; NumSGPRsForWavesPerEU: 24
; NumVGPRsForWavesPerEU: 20
; Occupancy: 10
; WaveLimiterHint : 0
; COMPUTE_PGM_RSRC2:SCRATCH_EN: 0
; COMPUTE_PGM_RSRC2:USER_SGPR: 6
; COMPUTE_PGM_RSRC2:TRAP_HANDLER: 0
; COMPUTE_PGM_RSRC2:TGID_X_EN: 1
; COMPUTE_PGM_RSRC2:TGID_Y_EN: 0
; COMPUTE_PGM_RSRC2:TGID_Z_EN: 0
; COMPUTE_PGM_RSRC2:TIDIG_COMP_CNT: 0
	.section	.text._Z18ScalarResultKernelI15HIP_vector_typeIdLj2EEEv15ComplexFunctionPDtdtcvT__E1xES3_,"axG",@progbits,_Z18ScalarResultKernelI15HIP_vector_typeIdLj2EEEv15ComplexFunctionPDtdtcvT__E1xES3_,comdat
	.protected	_Z18ScalarResultKernelI15HIP_vector_typeIdLj2EEEv15ComplexFunctionPDtdtcvT__E1xES3_ ; -- Begin function _Z18ScalarResultKernelI15HIP_vector_typeIdLj2EEEv15ComplexFunctionPDtdtcvT__E1xES3_
	.globl	_Z18ScalarResultKernelI15HIP_vector_typeIdLj2EEEv15ComplexFunctionPDtdtcvT__E1xES3_
	.p2align	8
	.type	_Z18ScalarResultKernelI15HIP_vector_typeIdLj2EEEv15ComplexFunctionPDtdtcvT__E1xES3_,@function
_Z18ScalarResultKernelI15HIP_vector_typeIdLj2EEEv15ComplexFunctionPDtdtcvT__E1xES3_: ; @_Z18ScalarResultKernelI15HIP_vector_typeIdLj2EEEv15ComplexFunctionPDtdtcvT__E1xES3_
; %bb.0:
	s_load_dword s8, s[4:5], 0x0
	s_load_dwordx4 s[0:3], s[4:5], 0x8
	s_load_dwordx2 s[6:7], s[4:5], 0x18
	s_waitcnt lgkmcnt(0)
	s_cmp_lt_i32 s8, 7
	s_cbranch_scc1 .LBB4_5
; %bb.1:
	s_cmp_lt_i32 s8, 8
	s_cbranch_scc1 .LBB4_7
; %bb.2:
	v_mov_b32_e32 v0, s2
	s_cmp_eq_u32 s8, 8
	v_mov_b32_e32 v1, s3
	s_cbranch_scc0 .LBB4_4
; %bb.3:
	v_mul_f64 v[0:1], s[6:7], s[6:7]
	v_fma_f64 v[0:1], s[2:3], s[2:3], v[0:1]
.LBB4_4:
	s_cbranch_execz .LBB4_8
	s_branch .LBB4_9
.LBB4_5:
                                        ; implicit-def: $vgpr0_vgpr1
	s_branch .LBB4_10
.LBB4_6:
	v_mov_b32_e32 v2, 0
	global_store_dwordx2 v2, v[0:1], s[0:1]
	s_endpgm
.LBB4_7:
                                        ; implicit-def: $vgpr0_vgpr1
.LBB4_8:
	v_mul_f64 v[0:1], s[6:7], s[6:7]
	s_mov_b32 s4, 0
	s_brev_b32 s5, 8
	v_fma_f64 v[0:1], s[2:3], s[2:3], v[0:1]
	v_cmp_gt_f64_e32 vcc, s[4:5], v[0:1]
	s_and_b64 s[4:5], vcc, exec
	s_cselect_b32 s4, 0x100, 0
	v_ldexp_f64 v[0:1], v[0:1], s4
	s_cselect_b32 s4, 0xffffff80, 0
	v_rsq_f64_e32 v[2:3], v[0:1]
	v_mul_f64 v[4:5], v[0:1], v[2:3]
	v_mul_f64 v[2:3], v[2:3], 0.5
	v_fma_f64 v[6:7], -v[2:3], v[4:5], 0.5
	v_fma_f64 v[4:5], v[4:5], v[6:7], v[4:5]
	v_fma_f64 v[2:3], v[2:3], v[6:7], v[2:3]
	v_fma_f64 v[6:7], -v[4:5], v[4:5], v[0:1]
	v_fma_f64 v[4:5], v[6:7], v[2:3], v[4:5]
	v_fma_f64 v[6:7], -v[4:5], v[4:5], v[0:1]
	v_fma_f64 v[2:3], v[6:7], v[2:3], v[4:5]
	v_mov_b32_e32 v4, 0x260
	v_cmp_class_f64_e32 vcc, v[0:1], v4
	v_ldexp_f64 v[2:3], v[2:3], s4
	v_cndmask_b32_e32 v1, v3, v1, vcc
	v_cndmask_b32_e32 v0, v2, v0, vcc
.LBB4_9:
	s_cbranch_execnz .LBB4_6
.LBB4_10:
	s_cmp_lg_u32 s8, 1
	s_cbranch_scc1 .LBB4_12
; %bb.11:
	s_mov_b64 s[2:3], s[6:7]
.LBB4_12:
	v_mov_b32_e32 v0, s2
	v_mov_b32_e32 v1, s3
	;; [unrolled: 1-line block ×3, first 2 shown]
	global_store_dwordx2 v2, v[0:1], s[0:1]
	s_endpgm
	.section	.rodata,"a",@progbits
	.p2align	6, 0x0
	.amdhsa_kernel _Z18ScalarResultKernelI15HIP_vector_typeIdLj2EEEv15ComplexFunctionPDtdtcvT__E1xES3_
		.amdhsa_group_segment_fixed_size 0
		.amdhsa_private_segment_fixed_size 0
		.amdhsa_kernarg_size 32
		.amdhsa_user_sgpr_count 6
		.amdhsa_user_sgpr_private_segment_buffer 1
		.amdhsa_user_sgpr_dispatch_ptr 0
		.amdhsa_user_sgpr_queue_ptr 0
		.amdhsa_user_sgpr_kernarg_segment_ptr 1
		.amdhsa_user_sgpr_dispatch_id 0
		.amdhsa_user_sgpr_flat_scratch_init 0
		.amdhsa_user_sgpr_private_segment_size 0
		.amdhsa_uses_dynamic_stack 0
		.amdhsa_system_sgpr_private_segment_wavefront_offset 0
		.amdhsa_system_sgpr_workgroup_id_x 1
		.amdhsa_system_sgpr_workgroup_id_y 0
		.amdhsa_system_sgpr_workgroup_id_z 0
		.amdhsa_system_sgpr_workgroup_info 0
		.amdhsa_system_vgpr_workitem_id 0
		.amdhsa_next_free_vgpr 8
		.amdhsa_next_free_sgpr 9
		.amdhsa_reserve_vcc 1
		.amdhsa_reserve_flat_scratch 0
		.amdhsa_float_round_mode_32 0
		.amdhsa_float_round_mode_16_64 0
		.amdhsa_float_denorm_mode_32 3
		.amdhsa_float_denorm_mode_16_64 3
		.amdhsa_dx10_clamp 1
		.amdhsa_ieee_mode 1
		.amdhsa_fp16_overflow 0
		.amdhsa_exception_fp_ieee_invalid_op 0
		.amdhsa_exception_fp_denorm_src 0
		.amdhsa_exception_fp_ieee_div_zero 0
		.amdhsa_exception_fp_ieee_overflow 0
		.amdhsa_exception_fp_ieee_underflow 0
		.amdhsa_exception_fp_ieee_inexact 0
		.amdhsa_exception_int_div_zero 0
	.end_amdhsa_kernel
	.section	.text._Z18ScalarResultKernelI15HIP_vector_typeIdLj2EEEv15ComplexFunctionPDtdtcvT__E1xES3_,"axG",@progbits,_Z18ScalarResultKernelI15HIP_vector_typeIdLj2EEEv15ComplexFunctionPDtdtcvT__E1xES3_,comdat
.Lfunc_end4:
	.size	_Z18ScalarResultKernelI15HIP_vector_typeIdLj2EEEv15ComplexFunctionPDtdtcvT__E1xES3_, .Lfunc_end4-_Z18ScalarResultKernelI15HIP_vector_typeIdLj2EEEv15ComplexFunctionPDtdtcvT__E1xES3_
                                        ; -- End function
	.set _Z18ScalarResultKernelI15HIP_vector_typeIdLj2EEEv15ComplexFunctionPDtdtcvT__E1xES3_.num_vgpr, 8
	.set _Z18ScalarResultKernelI15HIP_vector_typeIdLj2EEEv15ComplexFunctionPDtdtcvT__E1xES3_.num_agpr, 0
	.set _Z18ScalarResultKernelI15HIP_vector_typeIdLj2EEEv15ComplexFunctionPDtdtcvT__E1xES3_.numbered_sgpr, 9
	.set _Z18ScalarResultKernelI15HIP_vector_typeIdLj2EEEv15ComplexFunctionPDtdtcvT__E1xES3_.num_named_barrier, 0
	.set _Z18ScalarResultKernelI15HIP_vector_typeIdLj2EEEv15ComplexFunctionPDtdtcvT__E1xES3_.private_seg_size, 0
	.set _Z18ScalarResultKernelI15HIP_vector_typeIdLj2EEEv15ComplexFunctionPDtdtcvT__E1xES3_.uses_vcc, 1
	.set _Z18ScalarResultKernelI15HIP_vector_typeIdLj2EEEv15ComplexFunctionPDtdtcvT__E1xES3_.uses_flat_scratch, 0
	.set _Z18ScalarResultKernelI15HIP_vector_typeIdLj2EEEv15ComplexFunctionPDtdtcvT__E1xES3_.has_dyn_sized_stack, 0
	.set _Z18ScalarResultKernelI15HIP_vector_typeIdLj2EEEv15ComplexFunctionPDtdtcvT__E1xES3_.has_recursion, 0
	.set _Z18ScalarResultKernelI15HIP_vector_typeIdLj2EEEv15ComplexFunctionPDtdtcvT__E1xES3_.has_indirect_call, 0
	.section	.AMDGPU.csdata,"",@progbits
; Kernel info:
; codeLenInByte = 304
; TotalNumSgprs: 13
; NumVgprs: 8
; ScratchSize: 0
; MemoryBound: 0
; FloatMode: 240
; IeeeMode: 1
; LDSByteSize: 0 bytes/workgroup (compile time only)
; SGPRBlocks: 1
; VGPRBlocks: 1
; NumSGPRsForWavesPerEU: 13
; NumVGPRsForWavesPerEU: 8
; Occupancy: 10
; WaveLimiterHint : 0
; COMPUTE_PGM_RSRC2:SCRATCH_EN: 0
; COMPUTE_PGM_RSRC2:USER_SGPR: 6
; COMPUTE_PGM_RSRC2:TRAP_HANDLER: 0
; COMPUTE_PGM_RSRC2:TGID_X_EN: 1
; COMPUTE_PGM_RSRC2:TGID_Y_EN: 0
; COMPUTE_PGM_RSRC2:TGID_Z_EN: 0
; COMPUTE_PGM_RSRC2:TIDIG_COMP_CNT: 0
	.section	.text._Z21MakeComplexTypeKernelI15HIP_vector_typeIfLj2EEEvPT_DtdtcvS2__E1xES4_,"axG",@progbits,_Z21MakeComplexTypeKernelI15HIP_vector_typeIfLj2EEEvPT_DtdtcvS2__E1xES4_,comdat
	.protected	_Z21MakeComplexTypeKernelI15HIP_vector_typeIfLj2EEEvPT_DtdtcvS2__E1xES4_ ; -- Begin function _Z21MakeComplexTypeKernelI15HIP_vector_typeIfLj2EEEvPT_DtdtcvS2__E1xES4_
	.globl	_Z21MakeComplexTypeKernelI15HIP_vector_typeIfLj2EEEvPT_DtdtcvS2__E1xES4_
	.p2align	8
	.type	_Z21MakeComplexTypeKernelI15HIP_vector_typeIfLj2EEEvPT_DtdtcvS2__E1xES4_,@function
_Z21MakeComplexTypeKernelI15HIP_vector_typeIfLj2EEEvPT_DtdtcvS2__E1xES4_: ; @_Z21MakeComplexTypeKernelI15HIP_vector_typeIfLj2EEEvPT_DtdtcvS2__E1xES4_
; %bb.0:
	s_load_dwordx4 s[0:3], s[4:5], 0x0
	v_mov_b32_e32 v2, 0
	s_waitcnt lgkmcnt(0)
	v_mov_b32_e32 v0, s2
	v_mov_b32_e32 v1, s3
	global_store_dwordx2 v2, v[0:1], s[0:1]
	s_endpgm
	.section	.rodata,"a",@progbits
	.p2align	6, 0x0
	.amdhsa_kernel _Z21MakeComplexTypeKernelI15HIP_vector_typeIfLj2EEEvPT_DtdtcvS2__E1xES4_
		.amdhsa_group_segment_fixed_size 0
		.amdhsa_private_segment_fixed_size 0
		.amdhsa_kernarg_size 16
		.amdhsa_user_sgpr_count 6
		.amdhsa_user_sgpr_private_segment_buffer 1
		.amdhsa_user_sgpr_dispatch_ptr 0
		.amdhsa_user_sgpr_queue_ptr 0
		.amdhsa_user_sgpr_kernarg_segment_ptr 1
		.amdhsa_user_sgpr_dispatch_id 0
		.amdhsa_user_sgpr_flat_scratch_init 0
		.amdhsa_user_sgpr_private_segment_size 0
		.amdhsa_uses_dynamic_stack 0
		.amdhsa_system_sgpr_private_segment_wavefront_offset 0
		.amdhsa_system_sgpr_workgroup_id_x 1
		.amdhsa_system_sgpr_workgroup_id_y 0
		.amdhsa_system_sgpr_workgroup_id_z 0
		.amdhsa_system_sgpr_workgroup_info 0
		.amdhsa_system_vgpr_workitem_id 0
		.amdhsa_next_free_vgpr 3
		.amdhsa_next_free_sgpr 6
		.amdhsa_reserve_vcc 0
		.amdhsa_reserve_flat_scratch 0
		.amdhsa_float_round_mode_32 0
		.amdhsa_float_round_mode_16_64 0
		.amdhsa_float_denorm_mode_32 3
		.amdhsa_float_denorm_mode_16_64 3
		.amdhsa_dx10_clamp 1
		.amdhsa_ieee_mode 1
		.amdhsa_fp16_overflow 0
		.amdhsa_exception_fp_ieee_invalid_op 0
		.amdhsa_exception_fp_denorm_src 0
		.amdhsa_exception_fp_ieee_div_zero 0
		.amdhsa_exception_fp_ieee_overflow 0
		.amdhsa_exception_fp_ieee_underflow 0
		.amdhsa_exception_fp_ieee_inexact 0
		.amdhsa_exception_int_div_zero 0
	.end_amdhsa_kernel
	.section	.text._Z21MakeComplexTypeKernelI15HIP_vector_typeIfLj2EEEvPT_DtdtcvS2__E1xES4_,"axG",@progbits,_Z21MakeComplexTypeKernelI15HIP_vector_typeIfLj2EEEvPT_DtdtcvS2__E1xES4_,comdat
.Lfunc_end5:
	.size	_Z21MakeComplexTypeKernelI15HIP_vector_typeIfLj2EEEvPT_DtdtcvS2__E1xES4_, .Lfunc_end5-_Z21MakeComplexTypeKernelI15HIP_vector_typeIfLj2EEEvPT_DtdtcvS2__E1xES4_
                                        ; -- End function
	.set _Z21MakeComplexTypeKernelI15HIP_vector_typeIfLj2EEEvPT_DtdtcvS2__E1xES4_.num_vgpr, 3
	.set _Z21MakeComplexTypeKernelI15HIP_vector_typeIfLj2EEEvPT_DtdtcvS2__E1xES4_.num_agpr, 0
	.set _Z21MakeComplexTypeKernelI15HIP_vector_typeIfLj2EEEvPT_DtdtcvS2__E1xES4_.numbered_sgpr, 6
	.set _Z21MakeComplexTypeKernelI15HIP_vector_typeIfLj2EEEvPT_DtdtcvS2__E1xES4_.num_named_barrier, 0
	.set _Z21MakeComplexTypeKernelI15HIP_vector_typeIfLj2EEEvPT_DtdtcvS2__E1xES4_.private_seg_size, 0
	.set _Z21MakeComplexTypeKernelI15HIP_vector_typeIfLj2EEEvPT_DtdtcvS2__E1xES4_.uses_vcc, 0
	.set _Z21MakeComplexTypeKernelI15HIP_vector_typeIfLj2EEEvPT_DtdtcvS2__E1xES4_.uses_flat_scratch, 0
	.set _Z21MakeComplexTypeKernelI15HIP_vector_typeIfLj2EEEvPT_DtdtcvS2__E1xES4_.has_dyn_sized_stack, 0
	.set _Z21MakeComplexTypeKernelI15HIP_vector_typeIfLj2EEEvPT_DtdtcvS2__E1xES4_.has_recursion, 0
	.set _Z21MakeComplexTypeKernelI15HIP_vector_typeIfLj2EEEvPT_DtdtcvS2__E1xES4_.has_indirect_call, 0
	.section	.AMDGPU.csdata,"",@progbits
; Kernel info:
; codeLenInByte = 36
; TotalNumSgprs: 10
; NumVgprs: 3
; ScratchSize: 0
; MemoryBound: 0
; FloatMode: 240
; IeeeMode: 1
; LDSByteSize: 0 bytes/workgroup (compile time only)
; SGPRBlocks: 1
; VGPRBlocks: 0
; NumSGPRsForWavesPerEU: 10
; NumVGPRsForWavesPerEU: 3
; Occupancy: 10
; WaveLimiterHint : 0
; COMPUTE_PGM_RSRC2:SCRATCH_EN: 0
; COMPUTE_PGM_RSRC2:USER_SGPR: 6
; COMPUTE_PGM_RSRC2:TRAP_HANDLER: 0
; COMPUTE_PGM_RSRC2:TGID_X_EN: 1
; COMPUTE_PGM_RSRC2:TGID_Y_EN: 0
; COMPUTE_PGM_RSRC2:TGID_Z_EN: 0
; COMPUTE_PGM_RSRC2:TIDIG_COMP_CNT: 0
	.section	.text._Z21MakeComplexTypeKernelI15HIP_vector_typeIdLj2EEEvPT_DtdtcvS2__E1xES4_,"axG",@progbits,_Z21MakeComplexTypeKernelI15HIP_vector_typeIdLj2EEEvPT_DtdtcvS2__E1xES4_,comdat
	.protected	_Z21MakeComplexTypeKernelI15HIP_vector_typeIdLj2EEEvPT_DtdtcvS2__E1xES4_ ; -- Begin function _Z21MakeComplexTypeKernelI15HIP_vector_typeIdLj2EEEvPT_DtdtcvS2__E1xES4_
	.globl	_Z21MakeComplexTypeKernelI15HIP_vector_typeIdLj2EEEvPT_DtdtcvS2__E1xES4_
	.p2align	8
	.type	_Z21MakeComplexTypeKernelI15HIP_vector_typeIdLj2EEEvPT_DtdtcvS2__E1xES4_,@function
_Z21MakeComplexTypeKernelI15HIP_vector_typeIdLj2EEEvPT_DtdtcvS2__E1xES4_: ; @_Z21MakeComplexTypeKernelI15HIP_vector_typeIdLj2EEEvPT_DtdtcvS2__E1xES4_
; %bb.0:
	s_load_dwordx4 s[0:3], s[4:5], 0x0
	s_load_dwordx2 s[6:7], s[4:5], 0x10
	v_mov_b32_e32 v4, 0
	s_waitcnt lgkmcnt(0)
	v_mov_b32_e32 v0, s2
	v_mov_b32_e32 v1, s3
	;; [unrolled: 1-line block ×4, first 2 shown]
	global_store_dwordx4 v4, v[0:3], s[0:1]
	s_endpgm
	.section	.rodata,"a",@progbits
	.p2align	6, 0x0
	.amdhsa_kernel _Z21MakeComplexTypeKernelI15HIP_vector_typeIdLj2EEEvPT_DtdtcvS2__E1xES4_
		.amdhsa_group_segment_fixed_size 0
		.amdhsa_private_segment_fixed_size 0
		.amdhsa_kernarg_size 24
		.amdhsa_user_sgpr_count 6
		.amdhsa_user_sgpr_private_segment_buffer 1
		.amdhsa_user_sgpr_dispatch_ptr 0
		.amdhsa_user_sgpr_queue_ptr 0
		.amdhsa_user_sgpr_kernarg_segment_ptr 1
		.amdhsa_user_sgpr_dispatch_id 0
		.amdhsa_user_sgpr_flat_scratch_init 0
		.amdhsa_user_sgpr_private_segment_size 0
		.amdhsa_uses_dynamic_stack 0
		.amdhsa_system_sgpr_private_segment_wavefront_offset 0
		.amdhsa_system_sgpr_workgroup_id_x 1
		.amdhsa_system_sgpr_workgroup_id_y 0
		.amdhsa_system_sgpr_workgroup_id_z 0
		.amdhsa_system_sgpr_workgroup_info 0
		.amdhsa_system_vgpr_workitem_id 0
		.amdhsa_next_free_vgpr 5
		.amdhsa_next_free_sgpr 8
		.amdhsa_reserve_vcc 0
		.amdhsa_reserve_flat_scratch 0
		.amdhsa_float_round_mode_32 0
		.amdhsa_float_round_mode_16_64 0
		.amdhsa_float_denorm_mode_32 3
		.amdhsa_float_denorm_mode_16_64 3
		.amdhsa_dx10_clamp 1
		.amdhsa_ieee_mode 1
		.amdhsa_fp16_overflow 0
		.amdhsa_exception_fp_ieee_invalid_op 0
		.amdhsa_exception_fp_denorm_src 0
		.amdhsa_exception_fp_ieee_div_zero 0
		.amdhsa_exception_fp_ieee_overflow 0
		.amdhsa_exception_fp_ieee_underflow 0
		.amdhsa_exception_fp_ieee_inexact 0
		.amdhsa_exception_int_div_zero 0
	.end_amdhsa_kernel
	.section	.text._Z21MakeComplexTypeKernelI15HIP_vector_typeIdLj2EEEvPT_DtdtcvS2__E1xES4_,"axG",@progbits,_Z21MakeComplexTypeKernelI15HIP_vector_typeIdLj2EEEvPT_DtdtcvS2__E1xES4_,comdat
.Lfunc_end6:
	.size	_Z21MakeComplexTypeKernelI15HIP_vector_typeIdLj2EEEvPT_DtdtcvS2__E1xES4_, .Lfunc_end6-_Z21MakeComplexTypeKernelI15HIP_vector_typeIdLj2EEEvPT_DtdtcvS2__E1xES4_
                                        ; -- End function
	.set _Z21MakeComplexTypeKernelI15HIP_vector_typeIdLj2EEEvPT_DtdtcvS2__E1xES4_.num_vgpr, 5
	.set _Z21MakeComplexTypeKernelI15HIP_vector_typeIdLj2EEEvPT_DtdtcvS2__E1xES4_.num_agpr, 0
	.set _Z21MakeComplexTypeKernelI15HIP_vector_typeIdLj2EEEvPT_DtdtcvS2__E1xES4_.numbered_sgpr, 8
	.set _Z21MakeComplexTypeKernelI15HIP_vector_typeIdLj2EEEvPT_DtdtcvS2__E1xES4_.num_named_barrier, 0
	.set _Z21MakeComplexTypeKernelI15HIP_vector_typeIdLj2EEEvPT_DtdtcvS2__E1xES4_.private_seg_size, 0
	.set _Z21MakeComplexTypeKernelI15HIP_vector_typeIdLj2EEEvPT_DtdtcvS2__E1xES4_.uses_vcc, 0
	.set _Z21MakeComplexTypeKernelI15HIP_vector_typeIdLj2EEEvPT_DtdtcvS2__E1xES4_.uses_flat_scratch, 0
	.set _Z21MakeComplexTypeKernelI15HIP_vector_typeIdLj2EEEvPT_DtdtcvS2__E1xES4_.has_dyn_sized_stack, 0
	.set _Z21MakeComplexTypeKernelI15HIP_vector_typeIdLj2EEEvPT_DtdtcvS2__E1xES4_.has_recursion, 0
	.set _Z21MakeComplexTypeKernelI15HIP_vector_typeIdLj2EEEvPT_DtdtcvS2__E1xES4_.has_indirect_call, 0
	.section	.AMDGPU.csdata,"",@progbits
; Kernel info:
; codeLenInByte = 52
; TotalNumSgprs: 12
; NumVgprs: 5
; ScratchSize: 0
; MemoryBound: 0
; FloatMode: 240
; IeeeMode: 1
; LDSByteSize: 0 bytes/workgroup (compile time only)
; SGPRBlocks: 1
; VGPRBlocks: 1
; NumSGPRsForWavesPerEU: 12
; NumVGPRsForWavesPerEU: 5
; Occupancy: 10
; WaveLimiterHint : 0
; COMPUTE_PGM_RSRC2:SCRATCH_EN: 0
; COMPUTE_PGM_RSRC2:USER_SGPR: 6
; COMPUTE_PGM_RSRC2:TRAP_HANDLER: 0
; COMPUTE_PGM_RSRC2:TGID_X_EN: 1
; COMPUTE_PGM_RSRC2:TGID_Y_EN: 0
; COMPUTE_PGM_RSRC2:TGID_Z_EN: 0
; COMPUTE_PGM_RSRC2:TIDIG_COMP_CNT: 0
	.section	.text._Z21CastComplexTypeKernelI15HIP_vector_typeIdLj2EES0_IfLj2EEEvPT_T0_,"axG",@progbits,_Z21CastComplexTypeKernelI15HIP_vector_typeIdLj2EES0_IfLj2EEEvPT_T0_,comdat
	.protected	_Z21CastComplexTypeKernelI15HIP_vector_typeIdLj2EES0_IfLj2EEEvPT_T0_ ; -- Begin function _Z21CastComplexTypeKernelI15HIP_vector_typeIdLj2EES0_IfLj2EEEvPT_T0_
	.globl	_Z21CastComplexTypeKernelI15HIP_vector_typeIdLj2EES0_IfLj2EEEvPT_T0_
	.p2align	8
	.type	_Z21CastComplexTypeKernelI15HIP_vector_typeIdLj2EES0_IfLj2EEEvPT_T0_,@function
_Z21CastComplexTypeKernelI15HIP_vector_typeIdLj2EES0_IfLj2EEEvPT_T0_: ; @_Z21CastComplexTypeKernelI15HIP_vector_typeIdLj2EES0_IfLj2EEEvPT_T0_
; %bb.0:
	s_load_dwordx4 s[0:3], s[4:5], 0x0
	v_mov_b32_e32 v4, 0
	s_waitcnt lgkmcnt(0)
	v_cvt_f64_f32_e32 v[0:1], s2
	v_cvt_f64_f32_e32 v[2:3], s3
	global_store_dwordx4 v4, v[0:3], s[0:1]
	s_endpgm
	.section	.rodata,"a",@progbits
	.p2align	6, 0x0
	.amdhsa_kernel _Z21CastComplexTypeKernelI15HIP_vector_typeIdLj2EES0_IfLj2EEEvPT_T0_
		.amdhsa_group_segment_fixed_size 0
		.amdhsa_private_segment_fixed_size 0
		.amdhsa_kernarg_size 16
		.amdhsa_user_sgpr_count 6
		.amdhsa_user_sgpr_private_segment_buffer 1
		.amdhsa_user_sgpr_dispatch_ptr 0
		.amdhsa_user_sgpr_queue_ptr 0
		.amdhsa_user_sgpr_kernarg_segment_ptr 1
		.amdhsa_user_sgpr_dispatch_id 0
		.amdhsa_user_sgpr_flat_scratch_init 0
		.amdhsa_user_sgpr_private_segment_size 0
		.amdhsa_uses_dynamic_stack 0
		.amdhsa_system_sgpr_private_segment_wavefront_offset 0
		.amdhsa_system_sgpr_workgroup_id_x 1
		.amdhsa_system_sgpr_workgroup_id_y 0
		.amdhsa_system_sgpr_workgroup_id_z 0
		.amdhsa_system_sgpr_workgroup_info 0
		.amdhsa_system_vgpr_workitem_id 0
		.amdhsa_next_free_vgpr 5
		.amdhsa_next_free_sgpr 6
		.amdhsa_reserve_vcc 0
		.amdhsa_reserve_flat_scratch 0
		.amdhsa_float_round_mode_32 0
		.amdhsa_float_round_mode_16_64 0
		.amdhsa_float_denorm_mode_32 3
		.amdhsa_float_denorm_mode_16_64 3
		.amdhsa_dx10_clamp 1
		.amdhsa_ieee_mode 1
		.amdhsa_fp16_overflow 0
		.amdhsa_exception_fp_ieee_invalid_op 0
		.amdhsa_exception_fp_denorm_src 0
		.amdhsa_exception_fp_ieee_div_zero 0
		.amdhsa_exception_fp_ieee_overflow 0
		.amdhsa_exception_fp_ieee_underflow 0
		.amdhsa_exception_fp_ieee_inexact 0
		.amdhsa_exception_int_div_zero 0
	.end_amdhsa_kernel
	.section	.text._Z21CastComplexTypeKernelI15HIP_vector_typeIdLj2EES0_IfLj2EEEvPT_T0_,"axG",@progbits,_Z21CastComplexTypeKernelI15HIP_vector_typeIdLj2EES0_IfLj2EEEvPT_T0_,comdat
.Lfunc_end7:
	.size	_Z21CastComplexTypeKernelI15HIP_vector_typeIdLj2EES0_IfLj2EEEvPT_T0_, .Lfunc_end7-_Z21CastComplexTypeKernelI15HIP_vector_typeIdLj2EES0_IfLj2EEEvPT_T0_
                                        ; -- End function
	.set _Z21CastComplexTypeKernelI15HIP_vector_typeIdLj2EES0_IfLj2EEEvPT_T0_.num_vgpr, 5
	.set _Z21CastComplexTypeKernelI15HIP_vector_typeIdLj2EES0_IfLj2EEEvPT_T0_.num_agpr, 0
	.set _Z21CastComplexTypeKernelI15HIP_vector_typeIdLj2EES0_IfLj2EEEvPT_T0_.numbered_sgpr, 6
	.set _Z21CastComplexTypeKernelI15HIP_vector_typeIdLj2EES0_IfLj2EEEvPT_T0_.num_named_barrier, 0
	.set _Z21CastComplexTypeKernelI15HIP_vector_typeIdLj2EES0_IfLj2EEEvPT_T0_.private_seg_size, 0
	.set _Z21CastComplexTypeKernelI15HIP_vector_typeIdLj2EES0_IfLj2EEEvPT_T0_.uses_vcc, 0
	.set _Z21CastComplexTypeKernelI15HIP_vector_typeIdLj2EES0_IfLj2EEEvPT_T0_.uses_flat_scratch, 0
	.set _Z21CastComplexTypeKernelI15HIP_vector_typeIdLj2EES0_IfLj2EEEvPT_T0_.has_dyn_sized_stack, 0
	.set _Z21CastComplexTypeKernelI15HIP_vector_typeIdLj2EES0_IfLj2EEEvPT_T0_.has_recursion, 0
	.set _Z21CastComplexTypeKernelI15HIP_vector_typeIdLj2EES0_IfLj2EEEvPT_T0_.has_indirect_call, 0
	.section	.AMDGPU.csdata,"",@progbits
; Kernel info:
; codeLenInByte = 36
; TotalNumSgprs: 10
; NumVgprs: 5
; ScratchSize: 0
; MemoryBound: 0
; FloatMode: 240
; IeeeMode: 1
; LDSByteSize: 0 bytes/workgroup (compile time only)
; SGPRBlocks: 1
; VGPRBlocks: 1
; NumSGPRsForWavesPerEU: 10
; NumVGPRsForWavesPerEU: 5
; Occupancy: 10
; WaveLimiterHint : 0
; COMPUTE_PGM_RSRC2:SCRATCH_EN: 0
; COMPUTE_PGM_RSRC2:USER_SGPR: 6
; COMPUTE_PGM_RSRC2:TRAP_HANDLER: 0
; COMPUTE_PGM_RSRC2:TGID_X_EN: 1
; COMPUTE_PGM_RSRC2:TGID_Y_EN: 0
; COMPUTE_PGM_RSRC2:TGID_Z_EN: 0
; COMPUTE_PGM_RSRC2:TIDIG_COMP_CNT: 0
	.section	.text._Z21CastComplexTypeKernelI15HIP_vector_typeIfLj2EES0_IdLj2EEEvPT_T0_,"axG",@progbits,_Z21CastComplexTypeKernelI15HIP_vector_typeIfLj2EES0_IdLj2EEEvPT_T0_,comdat
	.protected	_Z21CastComplexTypeKernelI15HIP_vector_typeIfLj2EES0_IdLj2EEEvPT_T0_ ; -- Begin function _Z21CastComplexTypeKernelI15HIP_vector_typeIfLj2EES0_IdLj2EEEvPT_T0_
	.globl	_Z21CastComplexTypeKernelI15HIP_vector_typeIfLj2EES0_IdLj2EEEvPT_T0_
	.p2align	8
	.type	_Z21CastComplexTypeKernelI15HIP_vector_typeIfLj2EES0_IdLj2EEEvPT_T0_,@function
_Z21CastComplexTypeKernelI15HIP_vector_typeIfLj2EES0_IdLj2EEEvPT_T0_: ; @_Z21CastComplexTypeKernelI15HIP_vector_typeIfLj2EES0_IdLj2EEEvPT_T0_
; %bb.0:
	s_load_dwordx4 s[0:3], s[4:5], 0x10
	s_load_dwordx2 s[6:7], s[4:5], 0x0
	v_mov_b32_e32 v2, 0
	s_waitcnt lgkmcnt(0)
	v_cvt_f32_f64_e32 v0, s[0:1]
	v_cvt_f32_f64_e32 v1, s[2:3]
	global_store_dwordx2 v2, v[0:1], s[6:7]
	s_endpgm
	.section	.rodata,"a",@progbits
	.p2align	6, 0x0
	.amdhsa_kernel _Z21CastComplexTypeKernelI15HIP_vector_typeIfLj2EES0_IdLj2EEEvPT_T0_
		.amdhsa_group_segment_fixed_size 0
		.amdhsa_private_segment_fixed_size 0
		.amdhsa_kernarg_size 32
		.amdhsa_user_sgpr_count 6
		.amdhsa_user_sgpr_private_segment_buffer 1
		.amdhsa_user_sgpr_dispatch_ptr 0
		.amdhsa_user_sgpr_queue_ptr 0
		.amdhsa_user_sgpr_kernarg_segment_ptr 1
		.amdhsa_user_sgpr_dispatch_id 0
		.amdhsa_user_sgpr_flat_scratch_init 0
		.amdhsa_user_sgpr_private_segment_size 0
		.amdhsa_uses_dynamic_stack 0
		.amdhsa_system_sgpr_private_segment_wavefront_offset 0
		.amdhsa_system_sgpr_workgroup_id_x 1
		.amdhsa_system_sgpr_workgroup_id_y 0
		.amdhsa_system_sgpr_workgroup_id_z 0
		.amdhsa_system_sgpr_workgroup_info 0
		.amdhsa_system_vgpr_workitem_id 0
		.amdhsa_next_free_vgpr 3
		.amdhsa_next_free_sgpr 8
		.amdhsa_reserve_vcc 0
		.amdhsa_reserve_flat_scratch 0
		.amdhsa_float_round_mode_32 0
		.amdhsa_float_round_mode_16_64 0
		.amdhsa_float_denorm_mode_32 3
		.amdhsa_float_denorm_mode_16_64 3
		.amdhsa_dx10_clamp 1
		.amdhsa_ieee_mode 1
		.amdhsa_fp16_overflow 0
		.amdhsa_exception_fp_ieee_invalid_op 0
		.amdhsa_exception_fp_denorm_src 0
		.amdhsa_exception_fp_ieee_div_zero 0
		.amdhsa_exception_fp_ieee_overflow 0
		.amdhsa_exception_fp_ieee_underflow 0
		.amdhsa_exception_fp_ieee_inexact 0
		.amdhsa_exception_int_div_zero 0
	.end_amdhsa_kernel
	.section	.text._Z21CastComplexTypeKernelI15HIP_vector_typeIfLj2EES0_IdLj2EEEvPT_T0_,"axG",@progbits,_Z21CastComplexTypeKernelI15HIP_vector_typeIfLj2EES0_IdLj2EEEvPT_T0_,comdat
.Lfunc_end8:
	.size	_Z21CastComplexTypeKernelI15HIP_vector_typeIfLj2EES0_IdLj2EEEvPT_T0_, .Lfunc_end8-_Z21CastComplexTypeKernelI15HIP_vector_typeIfLj2EES0_IdLj2EEEvPT_T0_
                                        ; -- End function
	.set _Z21CastComplexTypeKernelI15HIP_vector_typeIfLj2EES0_IdLj2EEEvPT_T0_.num_vgpr, 3
	.set _Z21CastComplexTypeKernelI15HIP_vector_typeIfLj2EES0_IdLj2EEEvPT_T0_.num_agpr, 0
	.set _Z21CastComplexTypeKernelI15HIP_vector_typeIfLj2EES0_IdLj2EEEvPT_T0_.numbered_sgpr, 8
	.set _Z21CastComplexTypeKernelI15HIP_vector_typeIfLj2EES0_IdLj2EEEvPT_T0_.num_named_barrier, 0
	.set _Z21CastComplexTypeKernelI15HIP_vector_typeIfLj2EES0_IdLj2EEEvPT_T0_.private_seg_size, 0
	.set _Z21CastComplexTypeKernelI15HIP_vector_typeIfLj2EES0_IdLj2EEEvPT_T0_.uses_vcc, 0
	.set _Z21CastComplexTypeKernelI15HIP_vector_typeIfLj2EES0_IdLj2EEEvPT_T0_.uses_flat_scratch, 0
	.set _Z21CastComplexTypeKernelI15HIP_vector_typeIfLj2EES0_IdLj2EEEvPT_T0_.has_dyn_sized_stack, 0
	.set _Z21CastComplexTypeKernelI15HIP_vector_typeIfLj2EES0_IdLj2EEEvPT_T0_.has_recursion, 0
	.set _Z21CastComplexTypeKernelI15HIP_vector_typeIfLj2EES0_IdLj2EEEvPT_T0_.has_indirect_call, 0
	.section	.AMDGPU.csdata,"",@progbits
; Kernel info:
; codeLenInByte = 44
; TotalNumSgprs: 12
; NumVgprs: 3
; ScratchSize: 0
; MemoryBound: 0
; FloatMode: 240
; IeeeMode: 1
; LDSByteSize: 0 bytes/workgroup (compile time only)
; SGPRBlocks: 1
; VGPRBlocks: 0
; NumSGPRsForWavesPerEU: 12
; NumVGPRsForWavesPerEU: 3
; Occupancy: 10
; WaveLimiterHint : 0
; COMPUTE_PGM_RSRC2:SCRATCH_EN: 0
; COMPUTE_PGM_RSRC2:USER_SGPR: 6
; COMPUTE_PGM_RSRC2:TRAP_HANDLER: 0
; COMPUTE_PGM_RSRC2:TGID_X_EN: 1
; COMPUTE_PGM_RSRC2:TGID_Y_EN: 0
; COMPUTE_PGM_RSRC2:TGID_Z_EN: 0
; COMPUTE_PGM_RSRC2:TIDIG_COMP_CNT: 0
	.section	.AMDGPU.gpr_maximums,"",@progbits
	.set amdgpu.max_num_vgpr, 0
	.set amdgpu.max_num_agpr, 0
	.set amdgpu.max_num_sgpr, 0
	.section	.AMDGPU.csdata,"",@progbits
	.type	__hip_cuid_b99cb37174075b6c,@object ; @__hip_cuid_b99cb37174075b6c
	.section	.bss,"aw",@nobits
	.globl	__hip_cuid_b99cb37174075b6c
__hip_cuid_b99cb37174075b6c:
	.byte	0                               ; 0x0
	.size	__hip_cuid_b99cb37174075b6c, 1

	.ident	"AMD clang version 22.0.0git (https://github.com/RadeonOpenCompute/llvm-project roc-7.2.4 26084 f58b06dce1f9c15707c5f808fd002e18c2accf7e)"
	.section	".note.GNU-stack","",@progbits
	.addrsig
	.addrsig_sym __hip_cuid_b99cb37174075b6c
	.amdgpu_metadata
---
amdhsa.kernels:
  - .args:
      - .address_space:  global
        .offset:         0
        .size:           8
        .value_kind:     global_buffer
      - .offset:         8
        .size:           4
        .value_kind:     by_value
      - .offset:         12
        .size:           4
        .value_kind:     by_value
    .group_segment_fixed_size: 0
    .kernarg_segment_align: 8
    .kernarg_segment_size: 16
    .language:       OpenCL C
    .language_version:
      - 2
      - 0
    .max_flat_workgroup_size: 1024
    .name:           _Z24MakeHipComplexTypeKernelP15HIP_vector_typeIfLj2EEff
    .private_segment_fixed_size: 0
    .sgpr_count:     10
    .sgpr_spill_count: 0
    .symbol:         _Z24MakeHipComplexTypeKernelP15HIP_vector_typeIfLj2EEff.kd
    .uniform_work_group_size: 1
    .uses_dynamic_stack: false
    .vgpr_count:     3
    .vgpr_spill_count: 0
    .wavefront_size: 64
  - .args:
      - .offset:         0
        .size:           4
        .value_kind:     by_value
      - .address_space:  global
        .offset:         8
        .size:           8
        .value_kind:     global_buffer
      - .offset:         16
        .size:           8
        .value_kind:     by_value
      - .offset:         24
        .size:           8
        .value_kind:     by_value
      - .offset:         32
        .size:           8
        .value_kind:     by_value
    .group_segment_fixed_size: 0
    .kernarg_segment_align: 8
    .kernarg_segment_size: 40
    .language:       OpenCL C
    .language_version:
      - 2
      - 0
    .max_flat_workgroup_size: 1024
    .name:           _Z19ComplexResultKernelI15HIP_vector_typeIfLj2EEEv15ComplexFunctionPT_S3_S3_S3_
    .private_segment_fixed_size: 0
    .sgpr_count:     19
    .sgpr_spill_count: 0
    .symbol:         _Z19ComplexResultKernelI15HIP_vector_typeIfLj2EEEv15ComplexFunctionPT_S3_S3_S3_.kd
    .uniform_work_group_size: 1
    .uses_dynamic_stack: false
    .vgpr_count:     13
    .vgpr_spill_count: 0
    .wavefront_size: 64
  - .args:
      - .offset:         0
        .size:           4
        .value_kind:     by_value
      - .address_space:  global
        .offset:         8
        .size:           8
        .value_kind:     global_buffer
      - .offset:         16
        .size:           8
        .value_kind:     by_value
    .group_segment_fixed_size: 0
    .kernarg_segment_align: 8
    .kernarg_segment_size: 24
    .language:       OpenCL C
    .language_version:
      - 2
      - 0
    .max_flat_workgroup_size: 1024
    .name:           _Z18ScalarResultKernelI15HIP_vector_typeIfLj2EEEv15ComplexFunctionPDtdtcvT__E1xES3_
    .private_segment_fixed_size: 0
    .sgpr_count:     16
    .sgpr_spill_count: 0
    .symbol:         _Z18ScalarResultKernelI15HIP_vector_typeIfLj2EEEv15ComplexFunctionPDtdtcvT__E1xES3_.kd
    .uniform_work_group_size: 1
    .uses_dynamic_stack: false
    .vgpr_count:     4
    .vgpr_spill_count: 0
    .wavefront_size: 64
  - .args:
      - .offset:         0
        .size:           4
        .value_kind:     by_value
      - .address_space:  global
        .offset:         8
        .size:           8
        .value_kind:     global_buffer
      - .offset:         16
        .size:           16
        .value_kind:     by_value
      - .offset:         32
        .size:           16
        .value_kind:     by_value
      - .offset:         48
        .size:           16
        .value_kind:     by_value
    .group_segment_fixed_size: 0
    .kernarg_segment_align: 16
    .kernarg_segment_size: 64
    .language:       OpenCL C
    .language_version:
      - 2
      - 0
    .max_flat_workgroup_size: 1024
    .name:           _Z19ComplexResultKernelI15HIP_vector_typeIdLj2EEEv15ComplexFunctionPT_S3_S3_S3_
    .private_segment_fixed_size: 0
    .sgpr_count:     24
    .sgpr_spill_count: 0
    .symbol:         _Z19ComplexResultKernelI15HIP_vector_typeIdLj2EEEv15ComplexFunctionPT_S3_S3_S3_.kd
    .uniform_work_group_size: 1
    .uses_dynamic_stack: false
    .vgpr_count:     20
    .vgpr_spill_count: 0
    .wavefront_size: 64
  - .args:
      - .offset:         0
        .size:           4
        .value_kind:     by_value
      - .address_space:  global
        .offset:         8
        .size:           8
        .value_kind:     global_buffer
      - .offset:         16
        .size:           16
        .value_kind:     by_value
    .group_segment_fixed_size: 0
    .kernarg_segment_align: 16
    .kernarg_segment_size: 32
    .language:       OpenCL C
    .language_version:
      - 2
      - 0
    .max_flat_workgroup_size: 1024
    .name:           _Z18ScalarResultKernelI15HIP_vector_typeIdLj2EEEv15ComplexFunctionPDtdtcvT__E1xES3_
    .private_segment_fixed_size: 0
    .sgpr_count:     13
    .sgpr_spill_count: 0
    .symbol:         _Z18ScalarResultKernelI15HIP_vector_typeIdLj2EEEv15ComplexFunctionPDtdtcvT__E1xES3_.kd
    .uniform_work_group_size: 1
    .uses_dynamic_stack: false
    .vgpr_count:     8
    .vgpr_spill_count: 0
    .wavefront_size: 64
  - .args:
      - .address_space:  global
        .offset:         0
        .size:           8
        .value_kind:     global_buffer
      - .offset:         8
        .size:           4
        .value_kind:     by_value
      - .offset:         12
        .size:           4
        .value_kind:     by_value
    .group_segment_fixed_size: 0
    .kernarg_segment_align: 8
    .kernarg_segment_size: 16
    .language:       OpenCL C
    .language_version:
      - 2
      - 0
    .max_flat_workgroup_size: 1024
    .name:           _Z21MakeComplexTypeKernelI15HIP_vector_typeIfLj2EEEvPT_DtdtcvS2__E1xES4_
    .private_segment_fixed_size: 0
    .sgpr_count:     10
    .sgpr_spill_count: 0
    .symbol:         _Z21MakeComplexTypeKernelI15HIP_vector_typeIfLj2EEEvPT_DtdtcvS2__E1xES4_.kd
    .uniform_work_group_size: 1
    .uses_dynamic_stack: false
    .vgpr_count:     3
    .vgpr_spill_count: 0
    .wavefront_size: 64
  - .args:
      - .address_space:  global
        .offset:         0
        .size:           8
        .value_kind:     global_buffer
      - .offset:         8
        .size:           8
        .value_kind:     by_value
      - .offset:         16
        .size:           8
        .value_kind:     by_value
    .group_segment_fixed_size: 0
    .kernarg_segment_align: 8
    .kernarg_segment_size: 24
    .language:       OpenCL C
    .language_version:
      - 2
      - 0
    .max_flat_workgroup_size: 1024
    .name:           _Z21MakeComplexTypeKernelI15HIP_vector_typeIdLj2EEEvPT_DtdtcvS2__E1xES4_
    .private_segment_fixed_size: 0
    .sgpr_count:     12
    .sgpr_spill_count: 0
    .symbol:         _Z21MakeComplexTypeKernelI15HIP_vector_typeIdLj2EEEvPT_DtdtcvS2__E1xES4_.kd
    .uniform_work_group_size: 1
    .uses_dynamic_stack: false
    .vgpr_count:     5
    .vgpr_spill_count: 0
    .wavefront_size: 64
  - .args:
      - .address_space:  global
        .offset:         0
        .size:           8
        .value_kind:     global_buffer
      - .offset:         8
        .size:           8
        .value_kind:     by_value
    .group_segment_fixed_size: 0
    .kernarg_segment_align: 8
    .kernarg_segment_size: 16
    .language:       OpenCL C
    .language_version:
      - 2
      - 0
    .max_flat_workgroup_size: 1024
    .name:           _Z21CastComplexTypeKernelI15HIP_vector_typeIdLj2EES0_IfLj2EEEvPT_T0_
    .private_segment_fixed_size: 0
    .sgpr_count:     10
    .sgpr_spill_count: 0
    .symbol:         _Z21CastComplexTypeKernelI15HIP_vector_typeIdLj2EES0_IfLj2EEEvPT_T0_.kd
    .uniform_work_group_size: 1
    .uses_dynamic_stack: false
    .vgpr_count:     5
    .vgpr_spill_count: 0
    .wavefront_size: 64
  - .args:
      - .address_space:  global
        .offset:         0
        .size:           8
        .value_kind:     global_buffer
      - .offset:         16
        .size:           16
        .value_kind:     by_value
    .group_segment_fixed_size: 0
    .kernarg_segment_align: 16
    .kernarg_segment_size: 32
    .language:       OpenCL C
    .language_version:
      - 2
      - 0
    .max_flat_workgroup_size: 1024
    .name:           _Z21CastComplexTypeKernelI15HIP_vector_typeIfLj2EES0_IdLj2EEEvPT_T0_
    .private_segment_fixed_size: 0
    .sgpr_count:     12
    .sgpr_spill_count: 0
    .symbol:         _Z21CastComplexTypeKernelI15HIP_vector_typeIfLj2EES0_IdLj2EEEvPT_T0_.kd
    .uniform_work_group_size: 1
    .uses_dynamic_stack: false
    .vgpr_count:     3
    .vgpr_spill_count: 0
    .wavefront_size: 64
amdhsa.target:   amdgcn-amd-amdhsa--gfx906
amdhsa.version:
  - 1
  - 2
...

	.end_amdgpu_metadata
